;; amdgpu-corpus repo=ROCm/rocFFT kind=compiled arch=gfx950 opt=O3
	.text
	.amdgcn_target "amdgcn-amd-amdhsa--gfx950"
	.amdhsa_code_object_version 6
	.protected	fft_rtc_back_len50_factors_10_5_wgs_250_tpt_10_sp_ip_CI_sbcc_twdbase6_3step_dirReg ; -- Begin function fft_rtc_back_len50_factors_10_5_wgs_250_tpt_10_sp_ip_CI_sbcc_twdbase6_3step_dirReg
	.globl	fft_rtc_back_len50_factors_10_5_wgs_250_tpt_10_sp_ip_CI_sbcc_twdbase6_3step_dirReg
	.p2align	8
	.type	fft_rtc_back_len50_factors_10_5_wgs_250_tpt_10_sp_ip_CI_sbcc_twdbase6_3step_dirReg,@function
fft_rtc_back_len50_factors_10_5_wgs_250_tpt_10_sp_ip_CI_sbcc_twdbase6_3step_dirReg: ; @fft_rtc_back_len50_factors_10_5_wgs_250_tpt_10_sp_ip_CI_sbcc_twdbase6_3step_dirReg
; %bb.0:
	s_load_dwordx8 s[4:11], s[0:1], 0x8
	s_movk_i32 s3, 0xc0
	v_cmp_gt_u32_e32 vcc, s3, v0
	s_and_saveexec_b64 s[12:13], vcc
	s_cbranch_execz .LBB0_2
; %bb.1:
	v_lshlrev_b32_e32 v1, 3, v0
	s_waitcnt lgkmcnt(0)
	global_load_dwordx2 v[2:3], v1, s[4:5]
	v_add_u32_e32 v1, 0, v1
	s_waitcnt vmcnt(0)
	ds_write_b64 v1, v[2:3] offset:10000
.LBB0_2:
	s_or_b64 exec, exec, s[12:13]
	s_waitcnt lgkmcnt(0)
	s_load_dwordx2 s[18:19], s[8:9], 0x8
	s_mov_b32 s3, 0
	s_mov_b64 s[24:25], 0
	s_waitcnt lgkmcnt(0)
	s_add_u32 s4, s18, -1
	s_addc_u32 s5, s19, -1
	s_add_u32 s12, 0, 0xd7093700
	s_addc_u32 s13, 0, 51
	s_mul_hi_u32 s15, s12, 0xffffffe7
	s_add_i32 s13, s13, 0xa3d7070
	s_sub_i32 s15, s15, s12
	s_mul_i32 s20, s13, 0xffffffe7
	s_mul_i32 s14, s12, 0xffffffe7
	s_add_i32 s15, s15, s20
	s_mul_hi_u32 s16, s13, s14
	s_mul_i32 s17, s13, s14
	s_mul_i32 s21, s12, s15
	s_mul_hi_u32 s14, s12, s14
	s_mul_hi_u32 s20, s12, s15
	s_add_u32 s14, s14, s21
	s_addc_u32 s20, 0, s20
	s_add_u32 s14, s14, s17
	s_mul_hi_u32 s21, s13, s15
	s_addc_u32 s14, s20, s16
	s_addc_u32 s16, s21, 0
	s_mul_i32 s15, s13, s15
	s_add_u32 s14, s14, s15
	v_mov_b32_e32 v1, s14
	s_addc_u32 s15, 0, s16
	v_add_co_u32_e32 v1, vcc, s12, v1
	s_cmp_lg_u64 vcc, 0
	s_addc_u32 s12, s13, s15
	v_readfirstlane_b32 s15, v1
	s_mul_i32 s14, s4, s12
	s_mul_hi_u32 s16, s4, s15
	s_mul_hi_u32 s13, s4, s12
	s_add_u32 s14, s16, s14
	s_addc_u32 s13, 0, s13
	s_mul_hi_u32 s17, s5, s15
	s_mul_i32 s15, s5, s15
	s_add_u32 s14, s14, s15
	s_mul_hi_u32 s16, s5, s12
	s_addc_u32 s13, s13, s17
	s_addc_u32 s14, s16, 0
	s_mul_i32 s12, s5, s12
	s_add_u32 s12, s13, s12
	s_addc_u32 s13, 0, s14
	s_add_u32 s14, s12, 1
	s_addc_u32 s15, s13, 0
	s_add_u32 s16, s12, 2
	s_mul_i32 s20, s13, 25
	s_mul_hi_u32 s21, s12, 25
	s_addc_u32 s17, s13, 0
	s_add_i32 s21, s21, s20
	s_mul_i32 s20, s12, 25
	v_mov_b32_e32 v1, s20
	v_sub_co_u32_e32 v1, vcc, s4, v1
	s_cmp_lg_u64 vcc, 0
	s_subb_u32 s4, s5, s21
	v_subrev_co_u32_e32 v2, vcc, 25, v1
	s_cmp_lg_u64 vcc, 0
	s_subb_u32 s5, s4, 0
	v_readfirstlane_b32 s20, v2
	s_cmp_gt_u32 s20, 24
	s_cselect_b32 s20, -1, 0
	s_cmp_eq_u32 s5, 0
	s_cselect_b32 s5, s20, -1
	s_cmp_lg_u32 s5, 0
	s_cselect_b32 s5, s16, s14
	s_cselect_b32 s14, s17, s15
	v_readfirstlane_b32 s15, v1
	s_cmp_gt_u32 s15, 24
	s_cselect_b32 s15, -1, 0
	s_cmp_eq_u32 s4, 0
	s_cselect_b32 s4, s15, -1
	s_cmp_lg_u32 s4, 0
	s_cselect_b32 s5, s5, s12
	s_cselect_b32 s4, s14, s13
	s_add_u32 s22, s5, 1
	s_addc_u32 s23, s4, 0
	v_mov_b64_e32 v[2:3], s[22:23]
	v_cmp_lt_u64_e32 vcc, s[2:3], v[2:3]
	s_cbranch_vccnz .LBB0_4
; %bb.3:
	v_cvt_f32_u32_e32 v1, s22
	s_sub_i32 s4, 0, s22
	s_mov_b32 s25, s3
	v_rcp_iflag_f32_e32 v1, v1
	s_nop 0
	v_mul_f32_e32 v1, 0x4f7ffffe, v1
	v_cvt_u32_f32_e32 v1, v1
	s_nop 0
	v_readfirstlane_b32 s5, v1
	s_mul_i32 s4, s4, s5
	s_mul_hi_u32 s4, s5, s4
	s_add_i32 s5, s5, s4
	s_mul_hi_u32 s4, s2, s5
	s_mul_i32 s12, s4, s22
	s_sub_i32 s12, s2, s12
	s_add_i32 s5, s4, 1
	s_sub_i32 s13, s12, s22
	s_cmp_ge_u32 s12, s22
	s_cselect_b32 s4, s5, s4
	s_cselect_b32 s12, s13, s12
	s_add_i32 s5, s4, 1
	s_cmp_ge_u32 s12, s22
	s_cselect_b32 s24, s5, s4
.LBB0_4:
	s_load_dwordx2 s[4:5], s[0:1], 0x58
	s_load_dwordx2 s[16:17], s[0:1], 0x0
	s_load_dwordx4 s[12:15], s[10:11], 0x0
	s_mul_i32 s0, s24, s23
	s_mul_hi_u32 s1, s24, s22
	s_add_i32 s1, s1, s0
	s_mul_i32 s0, s24, s22
	s_sub_u32 s0, s2, s0
	s_subb_u32 s1, 0, s1
	s_mul_i32 s1, s1, 25
	s_mul_hi_u32 s20, s0, 25
	s_add_i32 s21, s20, s1
	s_mul_i32 s20, s0, 25
	s_waitcnt lgkmcnt(0)
	s_mul_i32 s0, s14, s21
	s_mul_hi_u32 s1, s14, s20
	s_add_i32 s0, s1, s0
	s_mul_i32 s1, s15, s20
	s_add_i32 s33, s0, s1
	v_cmp_lt_u64_e64 s[0:1], s[6:7], 3
	s_mul_i32 s38, s14, s20
	s_and_b64 vcc, exec, s[0:1]
	s_cbranch_vccnz .LBB0_14
; %bb.5:
	s_add_u32 s26, s10, 16
	s_addc_u32 s27, s11, 0
	s_add_u32 s8, s8, 16
	s_addc_u32 s9, s9, 0
	s_mov_b64 s[28:29], 2
	s_mov_b32 s30, 0
	v_mov_b64_e32 v[2:3], s[6:7]
.LBB0_6:                                ; =>This Inner Loop Header: Depth=1
	s_load_dwordx2 s[34:35], s[8:9], 0x0
	s_waitcnt lgkmcnt(0)
	s_or_b64 s[0:1], s[24:25], s[34:35]
	s_mov_b32 s31, s1
	s_cmp_lg_u64 s[30:31], 0
	s_cbranch_scc0 .LBB0_11
; %bb.7:                                ;   in Loop: Header=BB0_6 Depth=1
	v_cvt_f32_u32_e32 v1, s34
	v_cvt_f32_u32_e32 v4, s35
	s_sub_u32 s0, 0, s34
	s_subb_u32 s1, 0, s35
	v_fmac_f32_e32 v1, 0x4f800000, v4
	v_rcp_f32_e32 v1, v1
	s_nop 0
	v_mul_f32_e32 v1, 0x5f7ffffc, v1
	v_mul_f32_e32 v4, 0x2f800000, v1
	v_trunc_f32_e32 v4, v4
	v_fmac_f32_e32 v1, 0xcf800000, v4
	v_cvt_u32_f32_e32 v4, v4
	v_cvt_u32_f32_e32 v1, v1
	v_readfirstlane_b32 s31, v4
	v_readfirstlane_b32 s36, v1
	s_mul_i32 s37, s0, s31
	s_mul_hi_u32 s40, s0, s36
	s_mul_i32 s39, s1, s36
	s_add_i32 s37, s40, s37
	s_mul_i32 s41, s0, s36
	s_add_i32 s37, s37, s39
	s_mul_hi_u32 s39, s36, s37
	s_mul_i32 s40, s36, s37
	s_mul_hi_u32 s36, s36, s41
	s_add_u32 s36, s36, s40
	s_addc_u32 s39, 0, s39
	s_mul_hi_u32 s42, s31, s41
	s_mul_i32 s41, s31, s41
	s_add_u32 s36, s36, s41
	s_mul_hi_u32 s40, s31, s37
	s_addc_u32 s36, s39, s42
	s_addc_u32 s39, s40, 0
	s_mul_i32 s37, s31, s37
	s_add_u32 s36, s36, s37
	s_addc_u32 s37, 0, s39
	v_add_co_u32_e32 v1, vcc, s36, v1
	s_cmp_lg_u64 vcc, 0
	s_addc_u32 s31, s31, s37
	v_readfirstlane_b32 s37, v1
	s_mul_i32 s36, s0, s31
	s_mul_hi_u32 s39, s0, s37
	s_add_i32 s36, s39, s36
	s_mul_i32 s1, s1, s37
	s_add_i32 s36, s36, s1
	s_mul_i32 s0, s0, s37
	s_mul_hi_u32 s39, s31, s0
	s_mul_i32 s40, s31, s0
	s_mul_i32 s42, s37, s36
	s_mul_hi_u32 s0, s37, s0
	s_mul_hi_u32 s41, s37, s36
	s_add_u32 s0, s0, s42
	s_addc_u32 s37, 0, s41
	s_add_u32 s0, s0, s40
	s_mul_hi_u32 s1, s31, s36
	s_addc_u32 s0, s37, s39
	s_addc_u32 s1, s1, 0
	s_mul_i32 s36, s31, s36
	s_add_u32 s0, s0, s36
	s_addc_u32 s1, 0, s1
	v_add_co_u32_e32 v1, vcc, s0, v1
	s_cmp_lg_u64 vcc, 0
	s_addc_u32 s0, s31, s1
	v_readfirstlane_b32 s36, v1
	s_mul_i32 s31, s24, s0
	s_mul_hi_u32 s37, s24, s36
	s_mul_hi_u32 s1, s24, s0
	s_add_u32 s31, s37, s31
	s_addc_u32 s1, 0, s1
	s_mul_hi_u32 s39, s25, s36
	s_mul_i32 s36, s25, s36
	s_add_u32 s31, s31, s36
	s_mul_hi_u32 s37, s25, s0
	s_addc_u32 s1, s1, s39
	s_addc_u32 s31, s37, 0
	s_mul_i32 s0, s25, s0
	s_add_u32 s36, s1, s0
	s_addc_u32 s31, 0, s31
	s_mul_i32 s0, s34, s31
	s_mul_hi_u32 s1, s34, s36
	s_add_i32 s0, s1, s0
	s_mul_i32 s1, s35, s36
	s_add_i32 s37, s0, s1
	s_mul_i32 s1, s34, s36
	v_mov_b32_e32 v1, s1
	s_sub_i32 s0, s25, s37
	v_sub_co_u32_e32 v1, vcc, s24, v1
	s_cmp_lg_u64 vcc, 0
	s_subb_u32 s39, s0, s35
	v_subrev_co_u32_e64 v4, s[0:1], s34, v1
	s_cmp_lg_u64 s[0:1], 0
	s_subb_u32 s0, s39, 0
	s_cmp_ge_u32 s0, s35
	v_readfirstlane_b32 s39, v4
	s_cselect_b32 s1, -1, 0
	s_cmp_ge_u32 s39, s34
	s_cselect_b32 s39, -1, 0
	s_cmp_eq_u32 s0, s35
	s_cselect_b32 s0, s39, s1
	s_add_u32 s1, s36, 1
	s_addc_u32 s39, s31, 0
	s_add_u32 s40, s36, 2
	s_addc_u32 s41, s31, 0
	s_cmp_lg_u32 s0, 0
	s_cselect_b32 s0, s40, s1
	s_cselect_b32 s1, s41, s39
	s_cmp_lg_u64 vcc, 0
	s_subb_u32 s37, s25, s37
	s_cmp_ge_u32 s37, s35
	v_readfirstlane_b32 s40, v1
	s_cselect_b32 s39, -1, 0
	s_cmp_ge_u32 s40, s34
	s_cselect_b32 s40, -1, 0
	s_cmp_eq_u32 s37, s35
	s_cselect_b32 s37, s40, s39
	s_cmp_lg_u32 s37, 0
	s_cselect_b32 s1, s1, s31
	s_cselect_b32 s0, s0, s36
	s_cbranch_execnz .LBB0_9
.LBB0_8:                                ;   in Loop: Header=BB0_6 Depth=1
	v_cvt_f32_u32_e32 v1, s34
	s_sub_i32 s0, 0, s34
	v_rcp_iflag_f32_e32 v1, v1
	s_nop 0
	v_mul_f32_e32 v1, 0x4f7ffffe, v1
	v_cvt_u32_f32_e32 v1, v1
	s_nop 0
	v_readfirstlane_b32 s1, v1
	s_mul_i32 s0, s0, s1
	s_mul_hi_u32 s0, s1, s0
	s_add_i32 s1, s1, s0
	s_mul_hi_u32 s0, s24, s1
	s_mul_i32 s31, s0, s34
	s_sub_i32 s31, s24, s31
	s_add_i32 s1, s0, 1
	s_sub_i32 s36, s31, s34
	s_cmp_ge_u32 s31, s34
	s_cselect_b32 s0, s1, s0
	s_cselect_b32 s31, s36, s31
	s_add_i32 s1, s0, 1
	s_cmp_ge_u32 s31, s34
	s_cselect_b32 s0, s1, s0
	s_mov_b32 s1, s30
.LBB0_9:                                ;   in Loop: Header=BB0_6 Depth=1
	s_mul_i32 s23, s34, s23
	s_mul_hi_u32 s31, s34, s22
	s_add_i32 s23, s31, s23
	s_mul_i32 s31, s35, s22
	s_add_i32 s23, s23, s31
	s_mul_i32 s31, s0, s35
	s_mul_hi_u32 s35, s0, s34
	s_load_dwordx2 s[36:37], s[26:27], 0x0
	s_add_i32 s31, s35, s31
	s_mul_i32 s35, s1, s34
	s_mul_i32 s22, s34, s22
	s_add_i32 s31, s31, s35
	s_mul_i32 s34, s0, s34
	s_sub_u32 s24, s24, s34
	s_subb_u32 s25, s25, s31
	s_waitcnt lgkmcnt(0)
	s_mul_i32 s25, s36, s25
	s_mul_hi_u32 s31, s36, s24
	s_add_i32 s25, s31, s25
	s_mul_i32 s31, s37, s24
	s_add_i32 s25, s25, s31
	s_mul_i32 s24, s36, s24
	s_add_u32 s38, s24, s38
	s_addc_u32 s33, s25, s33
	s_add_u32 s28, s28, 1
	s_addc_u32 s29, s29, 0
	;; [unrolled: 2-line block ×3, first 2 shown]
	s_add_u32 s8, s8, 8
	v_cmp_ge_u64_e32 vcc, s[28:29], v[2:3]
	s_addc_u32 s9, s9, 0
	s_cbranch_vccnz .LBB0_12
; %bb.10:                               ;   in Loop: Header=BB0_6 Depth=1
	s_mov_b64 s[24:25], s[0:1]
	s_branch .LBB0_6
.LBB0_11:                               ;   in Loop: Header=BB0_6 Depth=1
                                        ; implicit-def: $sgpr0_sgpr1
	s_branch .LBB0_8
.LBB0_12:
	v_mov_b64_e32 v[2:3], s[22:23]
	v_cmp_lt_u64_e32 vcc, s[2:3], v[2:3]
	s_mov_b64 s[24:25], 0
	s_cbranch_vccnz .LBB0_14
; %bb.13:
	v_cvt_f32_u32_e32 v1, s22
	s_sub_i32 s0, 0, s22
	v_rcp_iflag_f32_e32 v1, v1
	s_nop 0
	v_mul_f32_e32 v1, 0x4f7ffffe, v1
	v_cvt_u32_f32_e32 v1, v1
	s_nop 0
	v_readfirstlane_b32 s1, v1
	s_mul_i32 s0, s0, s1
	s_mul_hi_u32 s0, s1, s0
	s_add_i32 s1, s1, s0
	s_mul_hi_u32 s0, s2, s1
	s_mul_i32 s3, s0, s22
	s_sub_i32 s2, s2, s3
	s_add_i32 s1, s0, 1
	s_sub_i32 s3, s2, s22
	s_cmp_ge_u32 s2, s22
	s_cselect_b32 s0, s1, s0
	s_cselect_b32 s2, s3, s2
	s_add_i32 s1, s0, 1
	s_cmp_ge_u32 s2, s22
	s_cselect_b32 s24, s1, s0
.LBB0_14:
	s_lshl_b64 s[0:1], s[6:7], 3
	s_add_u32 s0, s10, s0
	s_addc_u32 s1, s11, s1
	s_load_dwordx2 s[0:1], s[0:1], 0x0
	s_mov_b32 s2, 0xa3d70a4
	v_mul_hi_u32 v1, v0, s2
	v_mul_u32_u24_e32 v2, 25, v1
	v_sub_u32_e32 v10, v0, v2
	s_waitcnt lgkmcnt(0)
	s_mul_i32 s1, s1, s24
	s_mul_hi_u32 s2, s0, s24
	s_mul_i32 s0, s0, s24
	s_add_i32 s2, s2, s1
	s_add_u32 s6, s0, s38
	s_addc_u32 s7, s2, s33
	s_add_u32 s0, s20, 25
	s_addc_u32 s1, s21, 0
	v_mov_b64_e32 v[2:3], s[18:19]
	v_cmp_le_u64_e32 vcc, s[0:1], v[2:3]
	s_movk_i32 s0, 0x7d
	v_cmp_gt_u32_e64 s[0:1], s0, v0
	v_mov_b32_e32 v11, 0
	s_and_b64 s[8:9], s[0:1], vcc
	v_add_u32_e32 v34, 5, v1
	v_add_u32_e32 v33, 10, v1
	;; [unrolled: 1-line block ×7, first 2 shown]
	v_or_b32_e32 v27, 40, v1
	v_add_u32_e32 v26, 45, v1
                                        ; implicit-def: $vgpr24_vgpr25
                                        ; implicit-def: $vgpr22_vgpr23
                                        ; implicit-def: $vgpr16_vgpr17
                                        ; implicit-def: $vgpr8_vgpr9
                                        ; implicit-def: $vgpr4_vgpr5
                                        ; implicit-def: $vgpr20_vgpr21
                                        ; implicit-def: $vgpr18_vgpr19
                                        ; implicit-def: $vgpr14_vgpr15
                                        ; implicit-def: $vgpr6_vgpr7
                                        ; implicit-def: $vgpr2_vgpr3
	s_and_saveexec_b64 s[2:3], s[8:9]
	s_cbranch_execz .LBB0_16
; %bb.15:
	v_mad_u64_u32 v[2:3], s[8:9], s14, v10, 0
	v_mov_b32_e32 v4, v3
	v_mad_u64_u32 v[4:5], s[8:9], s15, v10, v[4:5]
	v_mov_b32_e32 v3, v4
	;; [unrolled: 2-line block ×3, first 2 shown]
	v_mad_u64_u32 v[6:7], s[8:9], s13, v1, v[6:7]
	s_lshl_b64 s[8:9], s[6:7], 3
	s_add_u32 s8, s4, s8
	s_addc_u32 s9, s5, s9
	v_mov_b32_e32 v5, v6
	v_lshl_add_u64 v[2:3], v[2:3], 3, s[8:9]
	v_lshl_add_u64 v[12:13], v[4:5], 3, v[2:3]
	v_mad_u64_u32 v[4:5], s[8:9], s12, v34, 0
	v_mov_b32_e32 v6, v5
	v_mad_u64_u32 v[6:7], s[8:9], s13, v34, v[6:7]
	v_mov_b32_e32 v5, v6
	v_lshl_add_u64 v[36:37], v[4:5], 3, v[2:3]
	v_mad_u64_u32 v[4:5], s[8:9], s12, v33, 0
	v_mov_b32_e32 v6, v5
	v_mad_u64_u32 v[6:7], s[8:9], s13, v33, v[6:7]
	v_mov_b32_e32 v5, v6
	;; [unrolled: 5-line block ×9, first 2 shown]
	v_lshl_add_u64 v[52:53], v[4:5], 3, v[2:3]
	global_load_dwordx2 v[2:3], v[12:13], off
	global_load_dwordx2 v[4:5], v[36:37], off
	;; [unrolled: 1-line block ×10, first 2 shown]
.LBB0_16:
	s_or_b64 exec, exec, s[2:3]
	v_lshl_add_u64 v[12:13], s[20:21], 0, v[10:11]
	v_cmp_gt_u64_e64 s[2:3], s[18:19], v[12:13]
	s_xor_b64 s[8:9], vcc, -1
	s_and_b64 s[10:11], s[0:1], s[2:3]
	s_and_b64 s[10:11], s[8:9], s[10:11]
	s_and_saveexec_b64 s[8:9], s[10:11]
	s_cbranch_execz .LBB0_18
; %bb.17:
	s_waitcnt vmcnt(9)
	v_mad_u64_u32 v[2:3], s[10:11], s14, v10, 0
	s_waitcnt vmcnt(8)
	v_mov_b32_e32 v4, v3
	v_mad_u64_u32 v[4:5], s[10:11], s15, v10, v[4:5]
	v_mov_b32_e32 v3, v4
	v_mad_u64_u32 v[4:5], s[10:11], s12, v1, 0
	s_waitcnt vmcnt(7)
	v_mov_b32_e32 v6, v5
	v_mad_u64_u32 v[6:7], s[10:11], s13, v1, v[6:7]
	s_lshl_b64 s[10:11], s[6:7], 3
	s_add_u32 s10, s4, s10
	s_addc_u32 s11, s5, s11
	v_mov_b32_e32 v5, v6
	v_lshl_add_u64 v[2:3], v[2:3], 3, s[10:11]
	v_lshl_add_u64 v[36:37], v[4:5], 3, v[2:3]
	v_mad_u64_u32 v[4:5], s[10:11], s12, v34, 0
	v_mov_b32_e32 v6, v5
	v_mad_u64_u32 v[6:7], s[10:11], s13, v34, v[6:7]
	v_mov_b32_e32 v5, v6
	v_lshl_add_u64 v[34:35], v[4:5], 3, v[2:3]
	v_mad_u64_u32 v[4:5], s[10:11], s12, v33, 0
	v_mov_b32_e32 v6, v5
	v_mad_u64_u32 v[6:7], s[10:11], s13, v33, v[6:7]
	v_mov_b32_e32 v5, v6
	;; [unrolled: 5-line block ×9, first 2 shown]
	v_lshl_add_u64 v[26:27], v[4:5], 3, v[2:3]
	global_load_dwordx2 v[2:3], v[36:37], off
	global_load_dwordx2 v[4:5], v[34:35], off
	;; [unrolled: 1-line block ×10, first 2 shown]
.LBB0_18:
	s_or_b64 exec, exec, s[8:9]
	v_lshlrev_b32_e32 v11, 3, v10
	s_and_saveexec_b64 s[8:9], s[0:1]
	s_cbranch_execz .LBB0_20
; %bb.19:
	s_waitcnt vmcnt(5)
	v_pk_add_f32 v[42:43], v[6:7], v[14:15] neg_lo:[0,1] neg_hi:[0,1]
	s_waitcnt vmcnt(1)
	v_pk_add_f32 v[44:45], v[20:21], v[18:19] neg_lo:[0,1] neg_hi:[0,1]
	s_mov_b32 s0, 0x3f737871
	v_pk_add_f32 v[42:43], v[44:45], v[42:43]
	v_pk_add_f32 v[44:45], v[22:23], v[16:17]
	s_waitcnt vmcnt(0)
	v_pk_add_f32 v[46:47], v[8:9], v[24:25] neg_lo:[0,1] neg_hi:[0,1]
	v_pk_add_f32 v[26:27], v[6:7], v[2:3]
	v_pk_add_f32 v[28:29], v[8:9], v[4:5]
	s_mov_b32 s10, 0x3f167918
	v_pk_fma_f32 v[44:45], v[44:45], 0.5, v[4:5] op_sel_hi:[1,0,1] neg_lo:[1,0,0] neg_hi:[1,0,0]
	v_pk_mul_f32 v[48:49], v[46:47], s[0:1] op_sel_hi:[1,0]
	v_pk_add_f32 v[52:53], v[16:17], v[22:23] neg_lo:[0,1] neg_hi:[0,1]
	v_pk_add_f32 v[26:27], v[14:15], v[26:27]
	v_pk_add_f32 v[28:29], v[16:17], v[28:29]
	v_pk_add_f32 v[50:51], v[48:49], v[44:45] op_sel:[1,0] op_sel_hi:[0,1]
	v_pk_mul_f32 v[54:55], v[52:53], s[10:11] op_sel_hi:[1,0]
	v_pk_add_f32 v[56:57], v[8:9], v[16:17] neg_lo:[0,1] neg_hi:[0,1]
	v_pk_add_f32 v[58:59], v[24:25], v[22:23] neg_lo:[0,1] neg_hi:[0,1]
	v_pk_add_f32 v[44:45], v[44:45], v[48:49] op_sel:[0,1] op_sel_hi:[1,0] neg_lo:[0,1] neg_hi:[0,1]
	v_pk_add_f32 v[16:17], v[16:17], v[8:9] neg_lo:[0,1] neg_hi:[0,1]
	v_pk_add_f32 v[8:9], v[24:25], v[8:9]
	v_pk_add_f32 v[26:27], v[18:19], v[26:27]
	v_pk_add_f32 v[28:29], v[22:23], v[28:29]
	v_pk_add_f32 v[32:33], v[18:19], v[14:15]
	v_pk_add_f32 v[34:35], v[6:7], v[20:21] neg_lo:[0,1] neg_hi:[0,1]
	v_pk_add_f32 v[38:39], v[14:15], v[18:19] neg_lo:[0,1] neg_hi:[0,1]
	s_mov_b32 s18, 0x3e9e377a
	v_pk_add_f32 v[50:51], v[54:55], v[50:51] op_sel:[1,0] op_sel_hi:[0,1]
	v_pk_add_f32 v[56:57], v[58:59], v[56:57]
	v_pk_add_f32 v[44:45], v[44:45], v[54:55] op_sel:[0,1] op_sel_hi:[1,0] neg_lo:[0,1] neg_hi:[0,1]
	v_pk_add_f32 v[22:23], v[22:23], v[24:25] neg_lo:[0,1] neg_hi:[0,1]
	v_pk_fma_f32 v[4:5], v[8:9], 0.5, v[4:5] op_sel_hi:[1,0,1] neg_lo:[1,0,0] neg_hi:[1,0,0]
	v_pk_add_f32 v[8:9], v[14:15], v[6:7] neg_lo:[0,1] neg_hi:[0,1]
	v_pk_add_f32 v[14:15], v[18:19], v[20:21] neg_lo:[0,1] neg_hi:[0,1]
	v_pk_mul_f32 v[18:19], v[52:53], s[0:1] op_sel_hi:[1,0]
	v_pk_add_f32 v[26:27], v[20:21], v[26:27]
	v_pk_fma_f32 v[32:33], v[32:33], 0.5, v[2:3] op_sel_hi:[1,0,1] neg_lo:[1,0,0] neg_hi:[1,0,0]
	v_pk_mul_f32 v[36:37], v[34:35], s[0:1] op_sel_hi:[1,0]
	v_pk_fma_f32 v[48:49], v[56:57], s[18:19], v[44:45] op_sel_hi:[1,0,1]
	v_mov_b32_e32 v45, v51
	v_pk_add_f32 v[16:17], v[22:23], v[16:17]
	v_pk_add_f32 v[6:7], v[20:21], v[6:7]
	v_pk_add_f32 v[20:21], v[4:5], v[18:19] op_sel:[0,1] op_sel_hi:[1,0] neg_lo:[0,1] neg_hi:[0,1]
	v_pk_mul_f32 v[22:23], v[46:47], s[10:11] op_sel_hi:[1,0]
	v_pk_add_f32 v[4:5], v[18:19], v[4:5] op_sel:[1,0] op_sel_hi:[0,1]
	v_pk_mul_f32 v[40:41], v[38:39], s[10:11] op_sel_hi:[1,0]
	v_pk_fma_f32 v[58:59], v[56:57], s[18:19], v[50:51] op_sel_hi:[1,0,1]
	v_pk_fma_f32 v[44:45], v[56:57], s[18:19], v[44:45] op_sel_hi:[1,0,1]
	v_pk_add_f32 v[50:51], v[32:33], v[36:37] op_sel:[0,1] op_sel_hi:[1,0] neg_lo:[0,1] neg_hi:[0,1]
	v_pk_add_f32 v[20:21], v[22:23], v[20:21] op_sel:[1,0] op_sel_hi:[0,1]
	v_pk_add_f32 v[4:5], v[4:5], v[22:23] op_sel:[0,1] op_sel_hi:[1,0] neg_lo:[0,1] neg_hi:[0,1]
	v_pk_add_f32 v[32:33], v[32:33], v[36:37] op_sel:[0,1] op_sel_hi:[1,0]
	v_pk_add_f32 v[36:37], v[50:51], v[40:41] op_sel:[0,1] op_sel_hi:[1,0] neg_lo:[0,1] neg_hi:[0,1]
	s_mov_b32 s20, 0x3f4f1bbd
	v_pk_mul_f32 v[50:51], v[44:45], s[10:11] op_sel_hi:[1,0]
	v_pk_fma_f32 v[2:3], v[6:7], 0.5, v[2:3] op_sel_hi:[1,0,1] neg_lo:[1,0,0] neg_hi:[1,0,0]
	v_pk_mul_f32 v[6:7], v[38:39], s[0:1] op_sel_hi:[1,0]
	v_pk_fma_f32 v[18:19], v[16:17], s[18:19], v[4:5] op_sel_hi:[1,0,1]
	v_mov_b32_e32 v5, v21
	v_pk_add_f32 v[28:29], v[24:25], v[28:29]
	v_pk_fma_f32 v[54:55], v[44:45], s[20:21], v[50:51] op_sel:[0,0,1] op_sel_hi:[1,0,0] neg_lo:[0,0,1] neg_hi:[0,0,1]
	v_pk_fma_f32 v[44:45], v[44:45], s[20:21], v[50:51] op_sel:[0,0,1] op_sel_hi:[1,0,0]
	v_pk_add_f32 v[8:9], v[14:15], v[8:9]
	v_pk_mul_f32 v[14:15], v[34:35], s[10:11] op_sel_hi:[1,0]
	v_pk_fma_f32 v[24:25], v[16:17], s[18:19], v[20:21] op_sel_hi:[1,0,1]
	v_pk_fma_f32 v[4:5], v[16:17], s[18:19], v[4:5] op_sel_hi:[1,0,1]
	v_pk_add_f32 v[16:17], v[2:3], v[6:7] op_sel:[0,1] op_sel_hi:[1,0]
	v_pk_add_f32 v[2:3], v[2:3], v[6:7] op_sel:[0,1] op_sel_hi:[1,0] neg_lo:[0,1] neg_hi:[0,1]
	s_mov_b32 s20, 0xbe9e377a
	v_pk_add_f32 v[2:3], v[2:3], v[14:15] op_sel:[0,1] op_sel_hi:[1,0]
	v_pk_add_f32 v[6:7], v[16:17], v[14:15] op_sel:[0,1] op_sel_hi:[1,0] neg_lo:[0,1] neg_hi:[0,1]
	v_pk_mul_f32 v[16:17], v[4:5], s[0:1] op_sel_hi:[1,0]
	s_mov_b32 s21, s0
	s_mov_b32 s0, 0xbf737871
	;; [unrolled: 1-line block ×3, first 2 shown]
	v_mov_b32_e32 v14, v6
	v_mov_b32_e32 v15, v3
	v_pk_fma_f32 v[20:21], v[4:5], s[18:19], v[16:17] op_sel:[0,0,1] op_sel_hi:[1,0,0] neg_lo:[0,0,1] neg_hi:[0,0,1]
	v_pk_fma_f32 v[4:5], v[4:5], s[18:19], v[16:17] op_sel:[0,0,1] op_sel_hi:[1,0,0]
	v_mov_b32_e32 v3, v7
	v_pk_mul_f32 v[6:7], v[18:19], s[0:1] op_sel:[1,0]
	v_mul_u32_u24_e32 v13, 0x7d0, v1
	v_pk_fma_f32 v[14:15], v[8:9], s[18:19], v[14:15] op_sel_hi:[1,0,1]
	v_mov_b32_e32 v21, v5
	v_pk_fma_f32 v[2:3], v[8:9], s[18:19], v[2:3] op_sel_hi:[1,0,1]
	v_pk_fma_f32 v[6:7], v[24:25], s[20:21], v[6:7] op_sel_hi:[0,1,1]
	s_mov_b32 s0, 0xbf4f1bbd
	v_add3_u32 v13, 0, v13, v11
	v_pk_add_f32 v[32:33], v[32:33], v[40:41] op_sel:[0,1] op_sel_hi:[1,0]
	v_pk_add_f32 v[4:5], v[14:15], v[20:21]
	v_pk_add_f32 v[8:9], v[2:3], v[6:7]
	s_mov_b32 s1, s10
	s_mov_b32 s10, 0xbf167918
	;; [unrolled: 1-line block ×3, first 2 shown]
	v_mov_b32_e32 v41, v33
	ds_write2_b64 v13, v[4:5], v[8:9] offset0:50 offset1:75
	v_mov_b32_e32 v33, v37
	v_pk_mul_f32 v[8:9], v[48:49], s[10:11] op_sel:[1,0]
	v_mov_b32_e32 v40, v36
	v_pk_fma_f32 v[4:5], v[42:43], s[18:19], v[32:33] op_sel_hi:[1,0,1]
	v_pk_fma_f32 v[8:9], v[58:59], s[0:1], v[8:9] op_sel_hi:[0,1,1]
	;; [unrolled: 1-line block ×3, first 2 shown]
	v_mov_b32_e32 v55, v45
	v_pk_add_f32 v[16:17], v[4:5], v[8:9]
	v_pk_add_f32 v[18:19], v[26:27], v[28:29] neg_lo:[0,1] neg_hi:[0,1]
	v_pk_add_f32 v[30:31], v[28:29], v[26:27]
	v_pk_add_f32 v[44:45], v[40:41], v[54:55]
	ds_write2_b64 v13, v[16:17], v[18:19] offset0:100 offset1:125
	v_pk_add_f32 v[16:17], v[40:41], v[54:55] neg_lo:[0,1] neg_hi:[0,1]
	v_pk_add_f32 v[14:15], v[14:15], v[20:21] neg_lo:[0,1] neg_hi:[0,1]
	;; [unrolled: 1-line block ×4, first 2 shown]
	ds_write2_b64 v13, v[30:31], v[44:45] offset1:25
	ds_write2_b64 v13, v[16:17], v[14:15] offset0:150 offset1:175
	ds_write2_b64 v13, v[2:3], v[4:5] offset0:200 offset1:225
.LBB0_20:
	s_or_b64 exec, exec, s[8:9]
	s_or_b64 s[0:1], vcc, s[2:3]
	s_waitcnt lgkmcnt(0)
	s_barrier
	s_and_saveexec_b64 s[2:3], s[0:1]
	s_cbranch_execz .LBB0_22
; %bb.21:
	s_mov_b32 s0, 0x1999999a
	s_waitcnt vmcnt(9)
	v_mul_hi_u32 v2, v1, s0
	v_mul_u32_u24_e32 v2, 10, v2
	s_waitcnt vmcnt(2)
	v_sub_u32_e32 v23, v1, v2
	v_mul_u32_u24_e32 v1, 0xc8, v1
	v_add3_u32 v1, 0, v1, v11
	v_add_u32_e32 v2, 0x7c0, v1
	ds_read2_b64 v[6:9], v2 offset0:2 offset1:252
	v_add_u32_e32 v2, 0x1760, v1
	ds_read2_b64 v[2:5], v2 offset0:2 offset1:252
	ds_read2_b32 v[14:15], v1 offset1:1
	v_add_u32_e32 v1, 40, v23
	v_mul_lo_u32 v1, v1, v12
	v_and_b32_e32 v16, 63, v1
	v_lshrrev_b32_e32 v11, 9, v1
	v_lshl_add_u32 v18, v16, 3, 0
	v_lshrrev_b32_e32 v16, 3, v1
	s_add_i32 s0, 0, 0x2710
	v_and_b32_e32 v11, 0x1f8, v11
	v_and_b32_e32 v16, 0x1f8, v16
	v_add_u32_e32 v11, s0, v11
	s_waitcnt vmcnt(1)
	v_add_u32_e32 v20, s0, v16
	v_mul_lo_u32 v30, v12, -10
	ds_read_b64 v[16:17], v11 offset:1024
	ds_read_b64 v[18:19], v18 offset:10000
	;; [unrolled: 1-line block ×3, first 2 shown]
	v_add_u32_e32 v1, v1, v30
	v_lshrrev_b32_e32 v11, 9, v1
	v_and_b32_e32 v11, 0x1f8, v11
	v_add_u32_e32 v11, s0, v11
	s_waitcnt vmcnt(0)
	ds_read_b64 v[24:25], v11 offset:1024
	s_waitcnt lgkmcnt(1)
	v_mul_f32_e32 v11, v18, v20
	v_fma_f32 v11, -v19, v21, v11
	v_pk_mul_f32 v[18:19], v[18:19], v[20:21] op_sel:[1,0] op_sel_hi:[0,1]
	v_add_f32_e32 v18, v18, v19
	v_mul_f32_e32 v19, v18, v17
	v_mul_f32_e32 v22, v11, v17
	v_fma_f32 v20, v16, v11, -v19
	v_fmac_f32_e32 v22, v16, v18
	v_lshrrev_b32_e32 v16, 3, v1
	v_and_b32_e32 v11, 63, v1
	v_and_b32_e32 v16, 0x1f8, v16
	v_add_u32_e32 v1, v1, v30
	v_add_u32_e32 v18, s0, v16
	v_lshrrev_b32_e32 v16, 9, v1
	v_lshl_add_u32 v11, v11, 3, 0
	v_and_b32_e32 v16, 0x1f8, v16
	v_add_u32_e32 v21, s0, v16
	ds_read_b64 v[16:17], v11 offset:10000
	ds_read_b64 v[18:19], v18 offset:512
	v_and_b32_e32 v11, 63, v1
	v_lshl_add_u32 v11, v11, 3, 0
	ds_read_b64 v[26:27], v21 offset:1024
	ds_read_b64 v[28:29], v11 offset:10000
	v_lshlrev_b32_e32 v13, 5, v23
	s_waitcnt lgkmcnt(2)
	v_mul_f32_e32 v11, v16, v18
	v_fma_f32 v11, -v17, v19, v11
	v_pk_mul_f32 v[16:17], v[16:17], v[18:19] op_sel:[1,0] op_sel_hi:[0,1]
	v_add_f32_e32 v17, v16, v17
	v_mul_f32_e32 v16, v17, v25
	v_fma_f32 v16, v24, v11, -v16
	v_mul_f32_e32 v18, v11, v25
	v_lshrrev_b32_e32 v11, 3, v1
	v_and_b32_e32 v11, 0x1f8, v11
	v_add_u32_e32 v11, s0, v11
	v_fmac_f32_e32 v18, v24, v17
	ds_read_b64 v[24:25], v11 offset:512
	v_add_u32_e32 v1, v1, v30
	v_lshrrev_b32_e32 v17, 9, v1
	v_and_b32_e32 v19, 63, v1
	v_lshrrev_b32_e32 v1, 3, v1
	v_and_b32_e32 v17, 0x1f8, v17
	v_and_b32_e32 v1, 0x1f8, v1
	v_add_u32_e32 v17, s0, v17
	v_add_u32_e32 v1, s0, v1
	v_lshl_add_u32 v19, v19, 3, 0
	ds_read_b64 v[32:33], v17 offset:1024
	ds_read_b64 v[34:35], v19 offset:10000
	;; [unrolled: 1-line block ×3, first 2 shown]
	s_waitcnt lgkmcnt(3)
	v_mul_f32_e32 v1, v29, v25
	v_mul_f32_e32 v11, v28, v25
	v_fma_f32 v1, v28, v24, -v1
	v_fmac_f32_e32 v11, v29, v24
	v_mul_f32_e32 v17, v11, v27
	v_mul_f32_e32 v50, v1, v27
	v_fma_f32 v17, v26, v1, -v17
	v_fmac_f32_e32 v50, v26, v11
	global_load_dwordx4 v[24:27], v13, s[16:17] offset:16
	global_load_dwordx4 v[28:31], v13, s[16:17]
	v_mul_lo_u32 v12, v23, v12
	v_lshrrev_b32_e32 v13, 9, v12
	v_and_b32_e32 v13, 0x1f8, v13
	v_and_b32_e32 v19, 63, v12
	v_lshrrev_b32_e32 v12, 3, v12
	s_waitcnt lgkmcnt(0)
	v_mul_f32_e32 v1, v35, v37
	v_mul_f32_e32 v11, v34, v37
	v_add_u32_e32 v13, s0, v13
	v_and_b32_e32 v12, 0x1f8, v12
	v_fma_f32 v1, v34, v36, -v1
	v_fmac_f32_e32 v11, v35, v36
	v_lshl_add_u32 v19, v19, 3, 0
	v_add_u32_e32 v21, s0, v12
	ds_read_b64 v[12:13], v13 offset:1024
	ds_read_b64 v[34:35], v19 offset:10000
	;; [unrolled: 1-line block ×3, first 2 shown]
	v_mul_f32_e32 v19, v11, v33
	v_mul_f32_e32 v21, v1, v33
	v_fma_f32 v19, v32, v1, -v19
	v_fmac_f32_e32 v21, v32, v11
	s_waitcnt lgkmcnt(0)
	v_mul_f32_e32 v1, v34, v36
	v_pk_mul_f32 v[32:33], v[34:35], v[36:37] op_sel:[1,0] op_sel_hi:[0,1]
	v_fma_f32 v1, -v35, v37, v1
	v_add_f32_e32 v11, v32, v33
	v_mul_f32_e32 v32, v11, v13
	v_mul_f32_e32 v34, v1, v13
	v_fma_f32 v32, v12, v1, -v32
	v_fmac_f32_e32 v34, v12, v11
	v_mad_u64_u32 v[12:13], s[0:1], s14, v10, 0
	v_mov_b32_e32 v36, v13
	v_mad_u64_u32 v[10:11], s[0:1], s15, v10, v[36:37]
	s_mov_b32 s0, 0x10624de
	s_nop 0
	v_mul_hi_u32 v0, v0, s0
	v_mad_u32_u24 v23, v0, 50, v23
	v_mad_u64_u32 v[0:1], s[0:1], s12, v23, 0
	v_mov_b32_e32 v13, v10
	v_mov_b32_e32 v10, v1
	v_mad_u64_u32 v[10:11], s[0:1], s13, v23, v[10:11]
	s_lshl_b64 s[0:1], s[6:7], 3
	s_add_u32 s0, s4, s0
	s_addc_u32 s1, s5, s1
	v_add_u32_e32 v33, 10, v23
	v_mov_b32_e32 v1, v10
	v_lshl_add_u64 v[10:11], v[12:13], 3, s[0:1]
	v_mad_u64_u32 v[12:13], s[0:1], s12, v33, 0
	v_mov_b32_e32 v36, v13
	v_mad_u64_u32 v[36:37], s[0:1], s13, v33, v[36:37]
	v_add_u32_e32 v33, 20, v23
	v_mov_b32_e32 v13, v36
	v_mad_u64_u32 v[36:37], s[0:1], s12, v33, 0
	v_mov_b32_e32 v38, v37
	v_mad_u64_u32 v[38:39], s[0:1], s13, v33, v[38:39]
	v_add_u32_e32 v33, 30, v23
	v_mov_b32_e32 v37, v38
	;; [unrolled: 5-line block ×3, first 2 shown]
	v_mad_u64_u32 v[40:41], s[0:1], s12, v23, 0
	v_mov_b32_e32 v42, v41
	v_mad_u64_u32 v[42:43], s[0:1], s13, v23, v[42:43]
	v_mov_b32_e32 v41, v42
	v_lshl_add_u64 v[0:1], v[0:1], 3, v[10:11]
	v_lshl_add_u64 v[12:13], v[12:13], 3, v[10:11]
	;; [unrolled: 1-line block ×5, first 2 shown]
	s_mov_b32 s4, 0x3f737871
	s_waitcnt vmcnt(0)
	v_pk_mul_f32 v[40:41], v[28:29], v[6:7] op_sel:[0,1]
	s_mov_b32 s2, 0x3f167918
	v_pk_fma_f32 v[42:43], v[28:29], v[6:7], v[40:41] op_sel:[0,0,1] op_sel_hi:[1,1,0]
	v_pk_fma_f32 v[6:7], v[28:29], v[6:7], v[40:41] op_sel:[0,0,1] op_sel_hi:[1,0,0] neg_lo:[1,0,0] neg_hi:[1,0,0]
	s_mov_b32 s0, 0x3e9e377a
	v_mov_b32_e32 v43, v7
	v_pk_mul_f32 v[6:7], v[26:27], v[4:5] op_sel:[0,1]
	s_nop 0
	v_pk_fma_f32 v[28:29], v[26:27], v[4:5], v[6:7] op_sel:[0,0,1] op_sel_hi:[1,1,0]
	v_pk_fma_f32 v[4:5], v[26:27], v[4:5], v[6:7] op_sel:[0,0,1] op_sel_hi:[1,0,0] neg_lo:[1,0,0] neg_hi:[1,0,0]
	s_nop 0
	v_mov_b32_e32 v29, v5
	v_pk_mul_f32 v[4:5], v[30:31], v[8:9] op_sel:[0,1]
	v_pk_add_f32 v[40:41], v[42:43], v[28:29] neg_lo:[0,1] neg_hi:[0,1]
	v_pk_fma_f32 v[6:7], v[30:31], v[8:9], v[4:5] op_sel:[0,0,1] op_sel_hi:[1,1,0]
	v_pk_fma_f32 v[4:5], v[30:31], v[8:9], v[4:5] op_sel:[0,0,1] op_sel_hi:[1,0,0] neg_lo:[1,0,0] neg_hi:[1,0,0]
	s_nop 0
	v_mov_b32_e32 v7, v5
	v_pk_mul_f32 v[4:5], v[24:25], v[2:3] op_sel:[0,1]
	s_nop 0
	v_pk_fma_f32 v[8:9], v[24:25], v[2:3], v[4:5] op_sel:[0,0,1] op_sel_hi:[1,1,0]
	v_pk_fma_f32 v[2:3], v[24:25], v[2:3], v[4:5] op_sel:[0,0,1] op_sel_hi:[1,0,0] neg_lo:[1,0,0] neg_hi:[1,0,0]
	s_nop 0
	v_mov_b32_e32 v9, v3
	v_pk_add_f32 v[30:31], v[6:7], v[8:9]
	v_pk_add_f32 v[24:25], v[6:7], v[8:9] neg_lo:[0,1] neg_hi:[0,1]
	v_pk_fma_f32 v[30:31], v[30:31], 0.5, v[14:15] op_sel_hi:[1,0,1] neg_lo:[1,0,0] neg_hi:[1,0,0]
	v_pk_add_f32 v[2:3], v[42:43], v[6:7] neg_lo:[0,1] neg_hi:[0,1]
	v_pk_fma_f32 v[44:45], v[40:41], s[4:5], v[30:31] op_sel:[1,0,0] op_sel_hi:[0,0,1]
	v_pk_fma_f32 v[30:31], v[40:41], s[4:5], v[30:31] op_sel:[1,0,0] op_sel_hi:[0,0,1] neg_lo:[1,0,0] neg_hi:[1,0,0]
	v_pk_add_f32 v[4:5], v[28:29], v[8:9] neg_lo:[0,1] neg_hi:[0,1]
	v_pk_fma_f32 v[46:47], v[24:25], s[2:3], v[44:45] op_sel:[1,0,0] op_sel_hi:[0,0,1]
	v_pk_fma_f32 v[48:49], v[24:25], s[2:3], v[30:31] op_sel:[1,0,0] op_sel_hi:[0,0,1] neg_lo:[1,0,0] neg_hi:[1,0,0]
	v_pk_add_f32 v[2:3], v[2:3], v[4:5]
	v_mov_b32_e32 v47, v49
	v_pk_mul_f32 v[4:5], v[2:3], s[0:1] op_sel_hi:[1,0]
	v_pk_fma_f32 v[2:3], v[2:3], s[0:1], v[46:47] op_sel_hi:[1,0,1]
	v_pk_mul_f32 v[26:27], v[24:25], s[2:3] op_sel:[1,0] op_sel_hi:[0,0]
	v_pk_mul_f32 v[22:23], v[2:3], v[22:23] op_sel_hi:[1,0]
	s_nop 0
	v_pk_fma_f32 v[46:47], v[2:3], v[20:21], v[22:23] op_sel:[0,0,1] op_sel_hi:[1,1,0]
	v_pk_fma_f32 v[2:3], v[2:3], v[20:21], v[22:23] op_sel:[0,0,1] op_sel_hi:[1,0,0] neg_lo:[0,0,1] neg_hi:[0,0,1]
	s_nop 0
	v_add_f32_e32 v2, v27, v45
	v_add_f32_e32 v2, v5, v2
	v_sub_f32_e32 v5, v30, v26
	v_add_f32_e32 v20, v4, v5
	v_mul_f32_e32 v4, v20, v21
	v_fma_f32 v5, v2, v19, -v4
	v_mul_f32_e32 v4, v2, v21
	v_fmac_f32_e32 v4, v20, v19
	v_pk_add_f32 v[20:21], v[42:43], v[14:15]
	v_mov_b32_e32 v47, v3
	v_pk_add_f32 v[20:21], v[20:21], v[6:7]
	s_nop 0
	v_pk_add_f32 v[20:21], v[20:21], v[8:9]
	s_nop 0
	;; [unrolled: 2-line block ×3, first 2 shown]
	v_pk_mul_f32 v[22:23], v[20:21], v[34:35] op_sel_hi:[1,0]
	s_nop 0
	v_pk_fma_f32 v[26:27], v[20:21], v[32:33], v[22:23] op_sel:[0,0,1] op_sel_hi:[1,1,0]
	v_pk_fma_f32 v[20:21], v[20:21], v[32:33], v[22:23] op_sel:[0,0,1] op_sel_hi:[1,0,0] neg_lo:[0,0,1] neg_hi:[0,0,1]
	s_nop 0
	v_mov_b32_e32 v27, v21
	global_store_dwordx2 v[0:1], v[26:27], off
	global_store_dwordx2 v[12:13], v[4:5], off
	v_pk_add_f32 v[4:5], v[8:9], v[28:29] neg_lo:[0,1] neg_hi:[0,1]
	v_pk_add_f32 v[8:9], v[42:43], v[28:29]
	v_pk_add_f32 v[0:1], v[6:7], v[42:43] neg_lo:[0,1] neg_hi:[0,1]
	v_pk_fma_f32 v[8:9], v[8:9], 0.5, v[14:15] op_sel_hi:[1,0,1] neg_lo:[1,0,0] neg_hi:[1,0,0]
	v_pk_add_f32 v[0:1], v[0:1], v[4:5]
	v_pk_fma_f32 v[12:13], v[24:25], s[4:5], v[8:9] op_sel:[1,0,0] op_sel_hi:[0,0,1] neg_lo:[1,0,0] neg_hi:[1,0,0]
	v_pk_fma_f32 v[8:9], v[24:25], s[4:5], v[8:9] op_sel:[1,0,0] op_sel_hi:[0,0,1]
	v_pk_fma_f32 v[14:15], v[40:41], s[2:3], v[12:13] op_sel:[1,0,0] op_sel_hi:[0,0,1]
	v_pk_fma_f32 v[20:21], v[40:41], s[2:3], v[8:9] op_sel:[1,0,0] op_sel_hi:[0,0,1] neg_lo:[1,0,0] neg_hi:[1,0,0]
	v_mov_b32_e32 v15, v21
	v_pk_mul_f32 v[4:5], v[0:1], s[0:1] op_sel_hi:[1,0]
	v_pk_fma_f32 v[0:1], v[0:1], s[0:1], v[14:15] op_sel_hi:[1,0,1]
	v_pk_mul_f32 v[6:7], v[40:41], s[2:3] op_sel:[1,0] op_sel_hi:[0,0]
	v_pk_mul_f32 v[14:15], v[0:1], v[18:19] op_sel_hi:[1,0]
	v_sub_f32_e32 v2, v8, v6
	v_pk_fma_f32 v[18:19], v[0:1], v[16:17], v[14:15] op_sel:[0,0,1] op_sel_hi:[1,1,0]
	v_pk_fma_f32 v[0:1], v[0:1], v[16:17], v[14:15] op_sel:[0,0,1] op_sel_hi:[1,0,0] neg_lo:[0,0,1] neg_hi:[0,0,1]
	v_add_f32_e32 v2, v4, v2
	v_add_f32_e32 v0, v7, v13
	;; [unrolled: 1-line block ×3, first 2 shown]
	v_mul_f32_e32 v4, v2, v50
	v_fma_f32 v5, v0, v17, -v4
	v_mul_f32_e32 v4, v0, v50
	v_fmac_f32_e32 v4, v2, v17
	v_mov_b32_e32 v19, v1
	global_store_dwordx2 v[36:37], v[4:5], off
	global_store_dwordx2 v[38:39], v[18:19], off
	global_store_dwordx2 v[10:11], v[46:47], off
.LBB0_22:
	s_endpgm
	.section	.rodata,"a",@progbits
	.p2align	6, 0x0
	.amdhsa_kernel fft_rtc_back_len50_factors_10_5_wgs_250_tpt_10_sp_ip_CI_sbcc_twdbase6_3step_dirReg
		.amdhsa_group_segment_fixed_size 0
		.amdhsa_private_segment_fixed_size 0
		.amdhsa_kernarg_size 96
		.amdhsa_user_sgpr_count 2
		.amdhsa_user_sgpr_dispatch_ptr 0
		.amdhsa_user_sgpr_queue_ptr 0
		.amdhsa_user_sgpr_kernarg_segment_ptr 1
		.amdhsa_user_sgpr_dispatch_id 0
		.amdhsa_user_sgpr_kernarg_preload_length 0
		.amdhsa_user_sgpr_kernarg_preload_offset 0
		.amdhsa_user_sgpr_private_segment_size 0
		.amdhsa_uses_dynamic_stack 0
		.amdhsa_enable_private_segment 0
		.amdhsa_system_sgpr_workgroup_id_x 1
		.amdhsa_system_sgpr_workgroup_id_y 0
		.amdhsa_system_sgpr_workgroup_id_z 0
		.amdhsa_system_sgpr_workgroup_info 0
		.amdhsa_system_vgpr_workitem_id 0
		.amdhsa_next_free_vgpr 60
		.amdhsa_next_free_sgpr 43
		.amdhsa_accum_offset 60
		.amdhsa_reserve_vcc 1
		.amdhsa_float_round_mode_32 0
		.amdhsa_float_round_mode_16_64 0
		.amdhsa_float_denorm_mode_32 3
		.amdhsa_float_denorm_mode_16_64 3
		.amdhsa_dx10_clamp 1
		.amdhsa_ieee_mode 1
		.amdhsa_fp16_overflow 0
		.amdhsa_tg_split 0
		.amdhsa_exception_fp_ieee_invalid_op 0
		.amdhsa_exception_fp_denorm_src 0
		.amdhsa_exception_fp_ieee_div_zero 0
		.amdhsa_exception_fp_ieee_overflow 0
		.amdhsa_exception_fp_ieee_underflow 0
		.amdhsa_exception_fp_ieee_inexact 0
		.amdhsa_exception_int_div_zero 0
	.end_amdhsa_kernel
	.text
.Lfunc_end0:
	.size	fft_rtc_back_len50_factors_10_5_wgs_250_tpt_10_sp_ip_CI_sbcc_twdbase6_3step_dirReg, .Lfunc_end0-fft_rtc_back_len50_factors_10_5_wgs_250_tpt_10_sp_ip_CI_sbcc_twdbase6_3step_dirReg
                                        ; -- End function
	.section	.AMDGPU.csdata,"",@progbits
; Kernel info:
; codeLenInByte = 5148
; NumSgprs: 49
; NumVgprs: 60
; NumAgprs: 0
; TotalNumVgprs: 60
; ScratchSize: 0
; MemoryBound: 0
; FloatMode: 240
; IeeeMode: 1
; LDSByteSize: 0 bytes/workgroup (compile time only)
; SGPRBlocks: 6
; VGPRBlocks: 7
; NumSGPRsForWavesPerEU: 49
; NumVGPRsForWavesPerEU: 60
; AccumOffset: 60
; Occupancy: 8
; WaveLimiterHint : 1
; COMPUTE_PGM_RSRC2:SCRATCH_EN: 0
; COMPUTE_PGM_RSRC2:USER_SGPR: 2
; COMPUTE_PGM_RSRC2:TRAP_HANDLER: 0
; COMPUTE_PGM_RSRC2:TGID_X_EN: 1
; COMPUTE_PGM_RSRC2:TGID_Y_EN: 0
; COMPUTE_PGM_RSRC2:TGID_Z_EN: 0
; COMPUTE_PGM_RSRC2:TIDIG_COMP_CNT: 0
; COMPUTE_PGM_RSRC3_GFX90A:ACCUM_OFFSET: 14
; COMPUTE_PGM_RSRC3_GFX90A:TG_SPLIT: 0
	.text
	.p2alignl 6, 3212836864
	.fill 256, 4, 3212836864
	.type	__hip_cuid_f4f72dd776bf44e6,@object ; @__hip_cuid_f4f72dd776bf44e6
	.section	.bss,"aw",@nobits
	.globl	__hip_cuid_f4f72dd776bf44e6
__hip_cuid_f4f72dd776bf44e6:
	.byte	0                               ; 0x0
	.size	__hip_cuid_f4f72dd776bf44e6, 1

	.ident	"AMD clang version 19.0.0git (https://github.com/RadeonOpenCompute/llvm-project roc-6.4.0 25133 c7fe45cf4b819c5991fe208aaa96edf142730f1d)"
	.section	".note.GNU-stack","",@progbits
	.addrsig
	.addrsig_sym __hip_cuid_f4f72dd776bf44e6
	.amdgpu_metadata
---
amdhsa.kernels:
  - .agpr_count:     0
    .args:
      - .actual_access:  read_only
        .address_space:  global
        .offset:         0
        .size:           8
        .value_kind:     global_buffer
      - .address_space:  global
        .offset:         8
        .size:           8
        .value_kind:     global_buffer
      - .offset:         16
        .size:           8
        .value_kind:     by_value
      - .actual_access:  read_only
        .address_space:  global
        .offset:         24
        .size:           8
        .value_kind:     global_buffer
      - .actual_access:  read_only
        .address_space:  global
        .offset:         32
        .size:           8
        .value_kind:     global_buffer
      - .offset:         40
        .size:           8
        .value_kind:     by_value
      - .actual_access:  read_only
        .address_space:  global
        .offset:         48
        .size:           8
        .value_kind:     global_buffer
      - .actual_access:  read_only
        .address_space:  global
        .offset:         56
        .size:           8
        .value_kind:     global_buffer
      - .offset:         64
        .size:           4
        .value_kind:     by_value
      - .actual_access:  read_only
        .address_space:  global
        .offset:         72
        .size:           8
        .value_kind:     global_buffer
      - .actual_access:  read_only
        .address_space:  global
        .offset:         80
        .size:           8
        .value_kind:     global_buffer
      - .address_space:  global
        .offset:         88
        .size:           8
        .value_kind:     global_buffer
    .group_segment_fixed_size: 0
    .kernarg_segment_align: 8
    .kernarg_segment_size: 96
    .language:       OpenCL C
    .language_version:
      - 2
      - 0
    .max_flat_workgroup_size: 250
    .name:           fft_rtc_back_len50_factors_10_5_wgs_250_tpt_10_sp_ip_CI_sbcc_twdbase6_3step_dirReg
    .private_segment_fixed_size: 0
    .sgpr_count:     49
    .sgpr_spill_count: 0
    .symbol:         fft_rtc_back_len50_factors_10_5_wgs_250_tpt_10_sp_ip_CI_sbcc_twdbase6_3step_dirReg.kd
    .uniform_work_group_size: 1
    .uses_dynamic_stack: false
    .vgpr_count:     60
    .vgpr_spill_count: 0
    .wavefront_size: 64
amdhsa.target:   amdgcn-amd-amdhsa--gfx950
amdhsa.version:
  - 1
  - 2
...

	.end_amdgpu_metadata
